;; amdgpu-corpus repo=ROCm/rocFFT kind=compiled arch=gfx906 opt=O3
	.text
	.amdgcn_target "amdgcn-amd-amdhsa--gfx906"
	.amdhsa_code_object_version 6
	.protected	fft_rtc_back_len72_factors_8_3_3_wgs_63_tpt_9_halfLds_half_ip_CI_unitstride_sbrr_R2C_dirReg ; -- Begin function fft_rtc_back_len72_factors_8_3_3_wgs_63_tpt_9_halfLds_half_ip_CI_unitstride_sbrr_R2C_dirReg
	.globl	fft_rtc_back_len72_factors_8_3_3_wgs_63_tpt_9_halfLds_half_ip_CI_unitstride_sbrr_R2C_dirReg
	.p2align	8
	.type	fft_rtc_back_len72_factors_8_3_3_wgs_63_tpt_9_halfLds_half_ip_CI_unitstride_sbrr_R2C_dirReg,@function
fft_rtc_back_len72_factors_8_3_3_wgs_63_tpt_9_halfLds_half_ip_CI_unitstride_sbrr_R2C_dirReg: ; @fft_rtc_back_len72_factors_8_3_3_wgs_63_tpt_9_halfLds_half_ip_CI_unitstride_sbrr_R2C_dirReg
; %bb.0:
	s_load_dwordx2 s[12:13], s[4:5], 0x50
	s_load_dwordx4 s[8:11], s[4:5], 0x0
	s_load_dwordx2 s[2:3], s[4:5], 0x18
	v_mul_u32_u24_e32 v1, 0x1c72, v0
	v_lshrrev_b32_e32 v1, 16, v1
	v_mad_u64_u32 v[1:2], s[0:1], s6, 7, v[1:2]
	v_mov_b32_e32 v5, 0
	s_waitcnt lgkmcnt(0)
	v_cmp_lt_u64_e64 s[0:1], s[10:11], 2
	v_mov_b32_e32 v2, v5
	v_mov_b32_e32 v3, 0
	;; [unrolled: 1-line block ×3, first 2 shown]
	s_and_b64 vcc, exec, s[0:1]
	v_mov_b32_e32 v4, 0
	v_mov_b32_e32 v9, v1
	s_cbranch_vccnz .LBB0_8
; %bb.1:
	s_load_dwordx2 s[0:1], s[4:5], 0x10
	s_add_u32 s6, s2, 8
	s_addc_u32 s7, s3, 0
	v_mov_b32_e32 v3, 0
	v_mov_b32_e32 v8, v2
	s_waitcnt lgkmcnt(0)
	s_add_u32 s16, s0, 8
	s_mov_b64 s[14:15], 1
	v_mov_b32_e32 v4, 0
	s_addc_u32 s17, s1, 0
	v_mov_b32_e32 v7, v1
.LBB0_2:                                ; =>This Inner Loop Header: Depth=1
	s_load_dwordx2 s[18:19], s[16:17], 0x0
                                        ; implicit-def: $vgpr9_vgpr10
	s_waitcnt lgkmcnt(0)
	v_or_b32_e32 v6, s19, v8
	v_cmp_ne_u64_e32 vcc, 0, v[5:6]
	s_and_saveexec_b64 s[0:1], vcc
	s_xor_b64 s[20:21], exec, s[0:1]
	s_cbranch_execz .LBB0_4
; %bb.3:                                ;   in Loop: Header=BB0_2 Depth=1
	v_cvt_f32_u32_e32 v2, s18
	v_cvt_f32_u32_e32 v6, s19
	s_sub_u32 s0, 0, s18
	s_subb_u32 s1, 0, s19
	v_mac_f32_e32 v2, 0x4f800000, v6
	v_rcp_f32_e32 v2, v2
	v_mul_f32_e32 v2, 0x5f7ffffc, v2
	v_mul_f32_e32 v6, 0x2f800000, v2
	v_trunc_f32_e32 v6, v6
	v_mac_f32_e32 v2, 0xcf800000, v6
	v_cvt_u32_f32_e32 v6, v6
	v_cvt_u32_f32_e32 v2, v2
	v_mul_lo_u32 v9, s0, v6
	v_mul_hi_u32 v10, s0, v2
	v_mul_lo_u32 v12, s1, v2
	v_mul_lo_u32 v11, s0, v2
	v_add_u32_e32 v9, v10, v9
	v_add_u32_e32 v9, v9, v12
	v_mul_hi_u32 v10, v2, v11
	v_mul_lo_u32 v12, v2, v9
	v_mul_hi_u32 v14, v2, v9
	v_mul_hi_u32 v13, v6, v11
	v_mul_lo_u32 v11, v6, v11
	v_mul_hi_u32 v15, v6, v9
	v_add_co_u32_e32 v10, vcc, v10, v12
	v_addc_co_u32_e32 v12, vcc, 0, v14, vcc
	v_mul_lo_u32 v9, v6, v9
	v_add_co_u32_e32 v10, vcc, v10, v11
	v_addc_co_u32_e32 v10, vcc, v12, v13, vcc
	v_addc_co_u32_e32 v11, vcc, 0, v15, vcc
	v_add_co_u32_e32 v9, vcc, v10, v9
	v_addc_co_u32_e32 v10, vcc, 0, v11, vcc
	v_add_co_u32_e32 v2, vcc, v2, v9
	v_addc_co_u32_e32 v6, vcc, v6, v10, vcc
	v_mul_lo_u32 v9, s0, v6
	v_mul_hi_u32 v10, s0, v2
	v_mul_lo_u32 v11, s1, v2
	v_mul_lo_u32 v12, s0, v2
	v_add_u32_e32 v9, v10, v9
	v_add_u32_e32 v9, v9, v11
	v_mul_lo_u32 v13, v2, v9
	v_mul_hi_u32 v14, v2, v12
	v_mul_hi_u32 v15, v2, v9
	;; [unrolled: 1-line block ×3, first 2 shown]
	v_mul_lo_u32 v12, v6, v12
	v_mul_hi_u32 v10, v6, v9
	v_add_co_u32_e32 v13, vcc, v14, v13
	v_addc_co_u32_e32 v14, vcc, 0, v15, vcc
	v_mul_lo_u32 v9, v6, v9
	v_add_co_u32_e32 v12, vcc, v13, v12
	v_addc_co_u32_e32 v11, vcc, v14, v11, vcc
	v_addc_co_u32_e32 v10, vcc, 0, v10, vcc
	v_add_co_u32_e32 v9, vcc, v11, v9
	v_addc_co_u32_e32 v10, vcc, 0, v10, vcc
	v_add_co_u32_e32 v2, vcc, v2, v9
	v_addc_co_u32_e32 v6, vcc, v6, v10, vcc
	v_mad_u64_u32 v[9:10], s[0:1], v7, v6, 0
	v_mul_hi_u32 v11, v7, v2
	v_add_co_u32_e32 v13, vcc, v11, v9
	v_addc_co_u32_e32 v14, vcc, 0, v10, vcc
	v_mad_u64_u32 v[9:10], s[0:1], v8, v2, 0
	v_mad_u64_u32 v[11:12], s[0:1], v8, v6, 0
	v_add_co_u32_e32 v2, vcc, v13, v9
	v_addc_co_u32_e32 v2, vcc, v14, v10, vcc
	v_addc_co_u32_e32 v6, vcc, 0, v12, vcc
	v_add_co_u32_e32 v2, vcc, v2, v11
	v_addc_co_u32_e32 v6, vcc, 0, v6, vcc
	v_mul_lo_u32 v11, s19, v2
	v_mul_lo_u32 v12, s18, v6
	v_mad_u64_u32 v[9:10], s[0:1], s18, v2, 0
	v_add3_u32 v10, v10, v12, v11
	v_sub_u32_e32 v11, v8, v10
	v_mov_b32_e32 v12, s19
	v_sub_co_u32_e32 v9, vcc, v7, v9
	v_subb_co_u32_e64 v11, s[0:1], v11, v12, vcc
	v_subrev_co_u32_e64 v12, s[0:1], s18, v9
	v_subbrev_co_u32_e64 v11, s[0:1], 0, v11, s[0:1]
	v_cmp_le_u32_e64 s[0:1], s19, v11
	v_cndmask_b32_e64 v13, 0, -1, s[0:1]
	v_cmp_le_u32_e64 s[0:1], s18, v12
	v_cndmask_b32_e64 v12, 0, -1, s[0:1]
	v_cmp_eq_u32_e64 s[0:1], s19, v11
	v_cndmask_b32_e64 v11, v13, v12, s[0:1]
	v_add_co_u32_e64 v12, s[0:1], 2, v2
	v_addc_co_u32_e64 v13, s[0:1], 0, v6, s[0:1]
	v_add_co_u32_e64 v14, s[0:1], 1, v2
	v_addc_co_u32_e64 v15, s[0:1], 0, v6, s[0:1]
	v_subb_co_u32_e32 v10, vcc, v8, v10, vcc
	v_cmp_ne_u32_e64 s[0:1], 0, v11
	v_cmp_le_u32_e32 vcc, s19, v10
	v_cndmask_b32_e64 v11, v15, v13, s[0:1]
	v_cndmask_b32_e64 v13, 0, -1, vcc
	v_cmp_le_u32_e32 vcc, s18, v9
	v_cndmask_b32_e64 v9, 0, -1, vcc
	v_cmp_eq_u32_e32 vcc, s19, v10
	v_cndmask_b32_e32 v9, v13, v9, vcc
	v_cmp_ne_u32_e32 vcc, 0, v9
	v_cndmask_b32_e32 v10, v6, v11, vcc
	v_cndmask_b32_e64 v6, v14, v12, s[0:1]
	v_cndmask_b32_e32 v9, v2, v6, vcc
.LBB0_4:                                ;   in Loop: Header=BB0_2 Depth=1
	s_andn2_saveexec_b64 s[0:1], s[20:21]
	s_cbranch_execz .LBB0_6
; %bb.5:                                ;   in Loop: Header=BB0_2 Depth=1
	v_cvt_f32_u32_e32 v2, s18
	s_sub_i32 s20, 0, s18
	v_rcp_iflag_f32_e32 v2, v2
	v_mul_f32_e32 v2, 0x4f7ffffe, v2
	v_cvt_u32_f32_e32 v2, v2
	v_mul_lo_u32 v6, s20, v2
	v_mul_hi_u32 v6, v2, v6
	v_add_u32_e32 v2, v2, v6
	v_mul_hi_u32 v2, v7, v2
	v_mul_lo_u32 v6, v2, s18
	v_add_u32_e32 v9, 1, v2
	v_sub_u32_e32 v6, v7, v6
	v_subrev_u32_e32 v10, s18, v6
	v_cmp_le_u32_e32 vcc, s18, v6
	v_cndmask_b32_e32 v6, v6, v10, vcc
	v_cndmask_b32_e32 v2, v2, v9, vcc
	v_add_u32_e32 v9, 1, v2
	v_cmp_le_u32_e32 vcc, s18, v6
	v_cndmask_b32_e32 v9, v2, v9, vcc
	v_mov_b32_e32 v10, v5
.LBB0_6:                                ;   in Loop: Header=BB0_2 Depth=1
	s_or_b64 exec, exec, s[0:1]
	v_mul_lo_u32 v2, v10, s18
	v_mul_lo_u32 v6, v9, s19
	v_mad_u64_u32 v[11:12], s[0:1], v9, s18, 0
	s_load_dwordx2 s[0:1], s[6:7], 0x0
	s_add_u32 s14, s14, 1
	v_add3_u32 v2, v12, v6, v2
	v_sub_co_u32_e32 v6, vcc, v7, v11
	v_subb_co_u32_e32 v2, vcc, v8, v2, vcc
	s_waitcnt lgkmcnt(0)
	v_mul_lo_u32 v2, s0, v2
	v_mul_lo_u32 v7, s1, v6
	v_mad_u64_u32 v[3:4], s[0:1], s0, v6, v[3:4]
	s_addc_u32 s15, s15, 0
	s_add_u32 s6, s6, 8
	v_add3_u32 v4, v7, v4, v2
	v_mov_b32_e32 v6, s10
	v_mov_b32_e32 v7, s11
	s_addc_u32 s7, s7, 0
	v_cmp_ge_u64_e32 vcc, s[14:15], v[6:7]
	s_add_u32 s16, s16, 8
	s_addc_u32 s17, s17, 0
	s_cbranch_vccnz .LBB0_8
; %bb.7:                                ;   in Loop: Header=BB0_2 Depth=1
	v_mov_b32_e32 v7, v9
	v_mov_b32_e32 v8, v10
	s_branch .LBB0_2
.LBB0_8:
	s_lshl_b64 s[0:1], s[10:11], 3
	s_add_u32 s0, s2, s0
	s_addc_u32 s1, s3, s1
	s_load_dwordx2 s[2:3], s[0:1], 0x0
	s_load_dwordx2 s[6:7], s[4:5], 0x20
	s_mov_b32 s0, 0x24924925
	v_mul_hi_u32 v5, v1, s0
	s_waitcnt lgkmcnt(0)
	v_mad_u64_u32 v[2:3], s[0:1], s2, v9, v[3:4]
	v_sub_u32_e32 v4, v1, v5
	v_lshrrev_b32_e32 v4, 1, v4
	v_add_u32_e32 v4, v4, v5
	v_lshrrev_b32_e32 v4, 2, v4
	s_mov_b32 s0, 0x1c71c71d
	v_mul_lo_u32 v4, v4, 7
	v_mul_hi_u32 v5, v0, s0
	v_mul_lo_u32 v6, s2, v10
	v_mul_lo_u32 v7, s3, v9
	v_sub_u32_e32 v1, v1, v4
	v_mul_u32_u24_e32 v4, 9, v5
	v_cmp_gt_u64_e32 vcc, s[6:7], v[9:10]
	v_cmp_le_u64_e64 s[0:1], s[6:7], v[9:10]
	v_sub_u32_e32 v0, v0, v4
	v_add3_u32 v3, v7, v3, v6
	v_add_u32_e32 v5, 9, v0
	v_add_u32_e32 v4, 18, v0
	s_and_saveexec_b64 s[2:3], s[0:1]
	s_xor_b64 s[0:1], exec, s[2:3]
; %bb.9:
	v_add_u32_e32 v5, 9, v0
	v_add_u32_e32 v4, 18, v0
; %bb.10:
	s_or_saveexec_b64 s[2:3], s[0:1]
	v_mul_u32_u24_e32 v1, 0x49, v1
	v_lshlrev_b64 v[2:3], 2, v[2:3]
	v_lshlrev_b32_e32 v18, 2, v1
	v_lshlrev_b32_e32 v17, 2, v0
	s_xor_b64 exec, exec, s[2:3]
	s_cbranch_execz .LBB0_12
; %bb.11:
	v_mov_b32_e32 v1, 0
	v_mov_b32_e32 v6, s13
	v_add_co_u32_e64 v8, s[0:1], s12, v2
	v_addc_co_u32_e64 v9, s[0:1], v6, v3, s[0:1]
	v_lshlrev_b64 v[6:7], 2, v[0:1]
	v_add_co_u32_e64 v6, s[0:1], v8, v6
	v_addc_co_u32_e64 v7, s[0:1], v9, v7, s[0:1]
	global_load_dword v1, v[6:7], off
	global_load_dword v8, v[6:7], off offset:36
	global_load_dword v9, v[6:7], off offset:72
	;; [unrolled: 1-line block ×7, first 2 shown]
	v_add3_u32 v6, 0, v18, v17
	s_waitcnt vmcnt(6)
	ds_write2_b32 v6, v1, v8 offset1:9
	s_waitcnt vmcnt(4)
	ds_write2_b32 v6, v9, v10 offset0:18 offset1:27
	s_waitcnt vmcnt(2)
	ds_write2_b32 v6, v11, v12 offset0:36 offset1:45
	;; [unrolled: 2-line block ×3, first 2 shown]
.LBB0_12:
	s_or_b64 exec, exec, s[2:3]
	v_add_u32_e32 v15, 0, v18
	v_add3_u32 v1, 0, v17, v18
	s_waitcnt lgkmcnt(0)
	; wave barrier
	s_waitcnt lgkmcnt(0)
	ds_read2_b32 v[6:7], v1 offset0:9 offset1:18
	ds_read2_b32 v[8:9], v1 offset0:45 offset1:54
	v_add_u32_e32 v14, v15, v17
	ds_read2_b32 v[10:11], v1 offset0:27 offset1:36
	ds_read_b32 v12, v14
	ds_read_b32 v13, v1 offset:252
	s_mov_b32 s0, 0xb9a8
	s_movk_i32 s1, 0x39a8
	s_waitcnt lgkmcnt(3)
	v_pk_add_f16 v9, v7, v9 neg_lo:[0,1] neg_hi:[0,1]
	s_waitcnt lgkmcnt(1)
	v_pk_add_f16 v11, v12, v11 neg_lo:[0,1] neg_hi:[0,1]
	v_pk_add_f16 v8, v6, v8 neg_lo:[0,1] neg_hi:[0,1]
	v_pk_fma_f16 v16, v12, 2.0, v11 op_sel_hi:[1,0,1] neg_lo:[0,0,1] neg_hi:[0,0,1]
	s_waitcnt lgkmcnt(0)
	v_pk_add_f16 v12, v10, v13 neg_lo:[0,1] neg_hi:[0,1]
	v_add_f16_sdwa v13, v11, v9 dst_sel:DWORD dst_unused:UNUSED_PAD src0_sel:DWORD src1_sel:WORD_1
	v_lshrrev_b32_e32 v19, 16, v11
	v_add_f16_sdwa v21, v8, v12 dst_sel:DWORD dst_unused:UNUSED_PAD src0_sel:DWORD src1_sel:WORD_1
	v_lshrrev_b32_e32 v20, 16, v8
	v_pk_fma_f16 v7, v7, 2.0, v9 op_sel_hi:[1,0,1] neg_lo:[0,0,1] neg_hi:[0,0,1]
	v_pk_fma_f16 v6, v6, 2.0, v8 op_sel_hi:[1,0,1] neg_lo:[0,0,1] neg_hi:[0,0,1]
	v_sub_f16_e32 v9, v19, v9
	v_fma_f16 v11, v11, 2.0, -v13
	v_sub_f16_e32 v22, v20, v12
	v_fma_f16 v8, v8, 2.0, -v21
	v_pk_fma_f16 v10, v10, 2.0, v12 op_sel_hi:[1,0,1] neg_lo:[0,0,1] neg_hi:[0,0,1]
	v_fma_f16 v19, v19, 2.0, -v9
	v_fma_f16 v12, v20, 2.0, -v22
	v_fma_f16 v20, v8, s0, v11
	v_fma_f16 v23, v12, s1, v20
	;; [unrolled: 1-line block ×3, first 2 shown]
	v_pk_add_f16 v7, v16, v7 neg_lo:[0,1] neg_hi:[0,1]
	v_pk_add_f16 v10, v6, v10 neg_lo:[0,1] neg_hi:[0,1]
	v_fma_f16 v8, v8, s0, v12
	v_pk_add_f16 v12, v7, v10 op_sel:[0,1] op_sel_hi:[1,0] neg_lo:[0,1] neg_hi:[0,1]
	v_lshrrev_b32_e32 v20, 16, v7
	v_lshrrev_b32_e32 v24, 16, v12
	v_fma_f16 v20, v20, 2.0, -v24
	v_pk_add_f16 v24, v7, v10 op_sel:[0,1] op_sel_hi:[1,0]
	v_pack_b32_f16 v19, v19, v7
	v_pack_b32_f16 v25, v8, v24
	v_pk_fma_f16 v19, v19, 2.0, v25 op_sel_hi:[1,0,1] neg_lo:[0,0,1] neg_hi:[0,0,1]
	v_fma_f16 v11, v11, 2.0, -v23
	v_alignbit_b32 v20, v20, v19, 16
	v_pack_b32_f16 v11, v11, v19
	v_mad_u32_u24 v19, v0, 28, v1
	v_pk_fma_f16 v10, v6, 2.0, v10 op_sel_hi:[1,0,1] neg_lo:[0,0,1] neg_hi:[0,0,1]
	v_fma_f16 v6, v22, s1, v9
	s_waitcnt lgkmcnt(0)
	; wave barrier
	ds_write2_b32 v19, v11, v20 offset0:1 offset1:2
	v_fma_f16 v20, v21, s0, v6
	v_fma_f16 v6, v21, s1, v13
	s_mov_b32 s2, 0xffff
	v_pk_fma_f16 v7, v16, 2.0, v7 op_sel_hi:[1,0,1] neg_lo:[0,0,1] neg_hi:[0,0,1]
	v_fma_f16 v6, v22, s1, v6
	v_bfi_b32 v12, s2, v24, v12
	v_fma_f16 v11, v13, 2.0, -v6
	v_fma_f16 v9, v9, 2.0, -v20
	v_pk_add_f16 v10, v7, v10 neg_lo:[0,1] neg_hi:[0,1]
	v_pack_b32_f16 v8, v23, v8
	v_pack_b32_f16 v9, v11, v9
	v_pk_fma_f16 v7, v7, 2.0, v10 op_sel_hi:[1,0,1] neg_lo:[0,0,1] neg_hi:[0,0,1]
	ds_write2_b32 v19, v8, v12 offset0:5 offset1:6
	v_pack_b32_f16 v8, v6, v20
	ds_write2_b32 v19, v9, v10 offset0:3 offset1:4
	ds_write2_b32 v19, v7, v8 offset1:7
	s_waitcnt lgkmcnt(0)
	; wave barrier
	s_waitcnt lgkmcnt(0)
	v_lshl_add_u32 v16, v5, 2, v15
	ds_read_b32 v23, v14
	ds_read_u16 v22, v14 offset:2
	ds_read_b32 v21, v16
	ds_read2_b32 v[10:11], v1 offset0:24 offset1:33
	ds_read2_b32 v[8:9], v1 offset0:48 offset1:57
	v_cmp_gt_u32_e64 s[0:1], 6, v0
	v_lshlrev_b32_e32 v19, 2, v4
                                        ; implicit-def: $vgpr24
	s_and_saveexec_b64 s[2:3], s[0:1]
	s_cbranch_execz .LBB0_14
; %bb.13:
	ds_read2_b32 v[6:7], v1 offset0:42 offset1:66
	v_add3_u32 v12, 0, v19, v18
	ds_read_b32 v12, v12
	s_waitcnt lgkmcnt(1)
	v_lshrrev_b32_e32 v20, 16, v6
	v_lshrrev_b32_e32 v24, 16, v7
.LBB0_14:
	s_or_b64 exec, exec, s[2:3]
	v_and_b32_e32 v31, 7, v0
	v_lshlrev_b32_e32 v13, 3, v31
	global_load_dwordx2 v[25:26], v13, s[8:9]
	v_and_b32_e32 v32, 7, v5
	v_lshlrev_b32_e32 v13, 3, v32
	global_load_dwordx2 v[27:28], v13, s[8:9]
	v_and_b32_e32 v13, 7, v4
	v_lshlrev_b32_e32 v29, 3, v13
	global_load_dwordx2 v[29:30], v29, s[8:9]
	s_waitcnt lgkmcnt(1)
	v_lshrrev_b32_e32 v33, 16, v10
	s_waitcnt lgkmcnt(0)
	v_lshrrev_b32_e32 v34, 16, v8
	s_mov_b32 s2, 0xbaee
	s_movk_i32 s3, 0x3aee
	s_waitcnt lgkmcnt(0)
	; wave barrier
	s_waitcnt vmcnt(2)
	v_mul_f16_sdwa v35, v25, v10 dst_sel:DWORD dst_unused:UNUSED_PAD src0_sel:WORD_1 src1_sel:DWORD
	v_mul_f16_sdwa v36, v25, v33 dst_sel:DWORD dst_unused:UNUSED_PAD src0_sel:WORD_1 src1_sel:DWORD
	v_fma_f16 v33, v25, v33, -v35
	v_mul_f16_sdwa v35, v26, v8 dst_sel:DWORD dst_unused:UNUSED_PAD src0_sel:WORD_1 src1_sel:DWORD
	v_fma_f16 v35, v26, v34, -v35
	v_mul_f16_sdwa v34, v26, v34 dst_sel:DWORD dst_unused:UNUSED_PAD src0_sel:WORD_1 src1_sel:DWORD
	v_fma_f16 v8, v26, v8, v34
	v_lshrrev_b32_e32 v26, 3, v0
	v_fma_f16 v10, v25, v10, v36
	v_lshrrev_b32_e32 v25, 16, v11
	v_mul_u32_u24_e32 v26, 24, v26
	v_or_b32_e32 v26, v26, v31
	s_waitcnt vmcnt(1)
	v_mul_f16_sdwa v31, v27, v25 dst_sel:DWORD dst_unused:UNUSED_PAD src0_sel:WORD_1 src1_sel:DWORD
	v_lshrrev_b32_e32 v34, 16, v9
	v_fma_f16 v31, v27, v11, v31
	v_mul_f16_sdwa v11, v27, v11 dst_sel:DWORD dst_unused:UNUSED_PAD src0_sel:WORD_1 src1_sel:DWORD
	v_mul_f16_sdwa v36, v28, v34 dst_sel:DWORD dst_unused:UNUSED_PAD src0_sel:WORD_1 src1_sel:DWORD
	v_fma_f16 v36, v28, v9, v36
	v_mul_f16_sdwa v9, v28, v9 dst_sel:DWORD dst_unused:UNUSED_PAD src0_sel:WORD_1 src1_sel:DWORD
	v_fma_f16 v11, v27, v25, -v11
	s_waitcnt vmcnt(0)
	v_mul_f16_sdwa v27, v20, v29 dst_sel:DWORD dst_unused:UNUSED_PAD src0_sel:DWORD src1_sel:WORD_1
	v_fma_f16 v9, v28, v34, -v9
	v_mul_f16_sdwa v28, v24, v30 dst_sel:DWORD dst_unused:UNUSED_PAD src0_sel:DWORD src1_sel:WORD_1
	v_mul_f16_sdwa v34, v6, v29 dst_sel:DWORD dst_unused:UNUSED_PAD src0_sel:DWORD src1_sel:WORD_1
	v_fma_f16 v27, v6, v29, v27
	v_mul_f16_sdwa v6, v7, v30 dst_sel:DWORD dst_unused:UNUSED_PAD src0_sel:DWORD src1_sel:WORD_1
	v_fma_f16 v28, v7, v30, v28
	v_fma_f16 v20, v20, v29, -v34
	v_fma_f16 v6, v24, v30, -v6
	v_add_f16_e32 v30, v10, v23
	v_add_f16_e32 v34, v10, v8
	v_sub_f16_e32 v10, v10, v8
	v_add_f16_e32 v8, v30, v8
	v_sub_f16_e32 v30, v33, v35
	v_fma_f16 v23, v34, -0.5, v23
	v_add_f16_e32 v34, v22, v33
	v_add_f16_e32 v33, v33, v35
	v_lshrrev_b32_e32 v25, 16, v21
	v_fma_f16 v22, v33, -0.5, v22
	v_add_f16_e32 v33, v31, v36
	v_lshrrev_b32_e32 v7, 16, v12
	v_add_f16_e32 v24, v27, v28
	v_add_f16_e32 v34, v34, v35
	;; [unrolled: 1-line block ×3, first 2 shown]
	v_fma_f16 v21, v33, -0.5, v21
	v_add_f16_e32 v33, v25, v11
	v_sub_f16_e32 v29, v20, v6
	v_sub_f16_e32 v31, v31, v36
	v_add_f16_e32 v35, v35, v36
	v_sub_f16_e32 v36, v11, v9
	v_add_f16_e32 v11, v11, v9
	v_add_f16_e32 v9, v33, v9
	;; [unrolled: 1-line block ×4, first 2 shown]
	v_fma_f16 v24, v24, -0.5, v12
	v_lshlrev_b32_e32 v26, 2, v26
	v_fma_f16 v11, v11, -0.5, v25
	v_add_f16_e32 v20, v33, v6
	v_fma_f16 v25, v37, -0.5, v7
	v_fma_f16 v6, v29, s2, v24
	v_fma_f16 v7, v29, s3, v24
	;; [unrolled: 1-line block ×4, first 2 shown]
	v_add3_u32 v26, 0, v26, v18
	v_add_f16_e32 v12, v12, v27
	v_pack_b32_f16 v8, v8, v34
	v_fma_f16 v33, v36, s2, v21
	v_fma_f16 v34, v36, s3, v21
	v_pack_b32_f16 v21, v24, v29
	ds_write2_b32 v26, v8, v21 offset1:8
	v_add_f16_e32 v21, v12, v28
	v_lshrrev_b32_e32 v12, 3, v5
	v_mul_lo_u32 v12, v12, 24
	v_fma_f16 v30, v30, s3, v23
	v_fma_f16 v10, v10, s2, v22
	v_sub_f16_e32 v8, v27, v28
	v_fma_f16 v22, v8, s3, v25
	v_fma_f16 v23, v8, s2, v25
	v_pack_b32_f16 v8, v30, v10
	ds_write_b32 v26, v8 offset:64
	v_or_b32_e32 v8, v12, v32
	v_fma_f16 v36, v31, s3, v11
	v_lshlrev_b32_e32 v8, 2, v8
	v_fma_f16 v11, v31, s2, v11
	v_add3_u32 v8, 0, v8, v18
	v_pack_b32_f16 v9, v35, v9
	v_pack_b32_f16 v10, v33, v36
	ds_write2_b32 v8, v9, v10 offset1:8
	v_pack_b32_f16 v9, v34, v11
	ds_write_b32 v8, v9 offset:64
	s_and_saveexec_b64 s[2:3], s[0:1]
	s_cbranch_execz .LBB0_16
; %bb.15:
	v_lshlrev_b32_e32 v8, 2, v13
	s_mov_b32 s4, 0x5040100
	v_add3_u32 v8, 0, v8, v18
	v_perm_b32 v9, v20, v21, s4
	ds_write_b32 v8, v9 offset:192
	v_mov_b32_e32 v9, 0xe0
	v_lshl_or_b32 v9, v4, 2, v9
	v_add3_u32 v9, 0, v9, v18
	v_perm_b32 v10, v22, v6, s4
	ds_write_b32 v9, v10
	v_perm_b32 v9, v23, v7, s4
	ds_write_b32 v8, v9 offset:256
.LBB0_16:
	s_or_b64 exec, exec, s[2:3]
	s_waitcnt lgkmcnt(0)
	; wave barrier
	s_waitcnt lgkmcnt(0)
	ds_read2_b32 v[10:11], v1 offset0:24 offset1:33
	ds_read2_b32 v[12:13], v1 offset0:48 offset1:57
	ds_read_b32 v25, v14
	ds_read_b32 v24, v16
	s_and_saveexec_b64 s[2:3], s[0:1]
	s_cbranch_execz .LBB0_18
; %bb.17:
	v_add3_u32 v8, 0, v19, v18
	ds_read2_b32 v[6:7], v1 offset0:42 offset1:66
	ds_read_b32 v21, v8
	s_waitcnt lgkmcnt(1)
	v_lshrrev_b32_e32 v22, 16, v6
	s_waitcnt lgkmcnt(0)
	v_lshrrev_b32_e32 v20, 16, v21
	v_lshrrev_b32_e32 v23, 16, v7
.LBB0_18:
	s_or_b64 exec, exec, s[2:3]
	v_lshlrev_b32_e32 v8, 1, v0
	v_mov_b32_e32 v9, 0
	v_lshlrev_b64 v[18:19], 2, v[8:9]
	v_lshlrev_b32_e32 v8, 1, v5
	v_mov_b32_e32 v28, s9
	v_add_co_u32_e64 v18, s[2:3], s8, v18
	v_lshlrev_b64 v[26:27], 2, v[8:9]
	v_addc_co_u32_e64 v19, s[2:3], v28, v19, s[2:3]
	v_add_co_u32_e64 v26, s[2:3], s8, v26
	global_load_dwordx2 v[18:19], v[18:19], off offset:64
	v_addc_co_u32_e64 v27, s[2:3], v28, v27, s[2:3]
	global_load_dwordx2 v[26:27], v[26:27], off offset:64
	s_waitcnt lgkmcnt(2)
	v_lshrrev_b32_e32 v30, 16, v12
	v_lshrrev_b32_e32 v31, 16, v10
	;; [unrolled: 1-line block ×4, first 2 shown]
	s_waitcnt lgkmcnt(1)
	v_lshrrev_b32_e32 v28, 16, v25
	s_waitcnt lgkmcnt(0)
	v_lshrrev_b32_e32 v8, 16, v24
	s_mov_b32 s4, 0xbaee
	s_movk_i32 s5, 0x3aee
	s_waitcnt lgkmcnt(0)
	; wave barrier
	s_waitcnt vmcnt(1)
	v_mul_f16_sdwa v33, v18, v31 dst_sel:DWORD dst_unused:UNUSED_PAD src0_sel:WORD_1 src1_sel:DWORD
	v_mul_f16_sdwa v34, v18, v10 dst_sel:DWORD dst_unused:UNUSED_PAD src0_sel:WORD_1 src1_sel:DWORD
	;; [unrolled: 1-line block ×4, first 2 shown]
	v_fma_f16 v31, v18, v31, -v34
	v_fma_f16 v30, v19, v30, -v35
	v_fma_f16 v10, v18, v10, v33
	v_fma_f16 v12, v19, v12, v36
	s_waitcnt vmcnt(0)
	v_mul_f16_sdwa v18, v26, v32 dst_sel:DWORD dst_unused:UNUSED_PAD src0_sel:WORD_1 src1_sel:DWORD
	v_mul_f16_sdwa v19, v26, v11 dst_sel:DWORD dst_unused:UNUSED_PAD src0_sel:WORD_1 src1_sel:DWORD
	;; [unrolled: 1-line block ×4, first 2 shown]
	v_fma_f16 v11, v26, v11, v18
	v_fma_f16 v18, v26, v32, -v19
	v_fma_f16 v13, v27, v13, v33
	v_fma_f16 v19, v27, v29, -v34
	v_add_f16_e32 v26, v10, v25
	v_add_f16_e32 v27, v10, v12
	v_sub_f16_e32 v29, v31, v30
	v_add_f16_e32 v32, v31, v28
	v_add_f16_e32 v31, v31, v30
	v_sub_f16_e32 v10, v10, v12
	v_add_f16_e32 v12, v26, v12
	v_fma_f16 v25, v27, -0.5, v25
	v_add_f16_e32 v26, v32, v30
	v_fma_f16 v27, v31, -0.5, v28
	v_add_f16_e32 v30, v11, v13
	v_sub_f16_e32 v31, v18, v19
	v_add_f16_e32 v32, v8, v18
	v_add_f16_e32 v18, v18, v19
	;; [unrolled: 1-line block ×3, first 2 shown]
	v_sub_f16_e32 v11, v11, v13
	v_fma_f16 v33, v29, s4, v25
	v_fma_f16 v25, v29, s5, v25
	;; [unrolled: 1-line block ×4, first 2 shown]
	v_fma_f16 v24, v30, -0.5, v24
	v_fma_f16 v8, v18, -0.5, v8
	v_add_f16_e32 v13, v28, v13
	v_add_f16_e32 v19, v32, v19
	v_pack_b32_f16 v12, v12, v26
	v_fma_f16 v18, v31, s4, v24
	v_fma_f16 v26, v11, s5, v8
	;; [unrolled: 1-line block ×3, first 2 shown]
	v_pack_b32_f16 v11, v33, v29
	v_pack_b32_f16 v10, v25, v10
	v_fma_f16 v24, v31, s5, v24
	v_pack_b32_f16 v13, v13, v19
	ds_write2_b32 v1, v12, v11 offset1:24
	ds_write_b32 v1, v10 offset:192
	v_pack_b32_f16 v10, v18, v26
	v_pack_b32_f16 v8, v24, v8
	ds_write2_b32 v16, v13, v10 offset1:24
	ds_write_b32 v16, v8 offset:192
	s_and_saveexec_b64 s[2:3], s[0:1]
	s_cbranch_execz .LBB0_20
; %bb.19:
	v_add_u32_e32 v8, -6, v0
	v_cndmask_b32_e64 v8, v8, v4, s[0:1]
	v_lshlrev_b32_e32 v8, 1, v8
	v_lshlrev_b64 v[8:9], 2, v[8:9]
	v_mov_b32_e32 v10, s9
	v_add_co_u32_e64 v8, s[0:1], s8, v8
	v_addc_co_u32_e64 v9, s[0:1], v10, v9, s[0:1]
	global_load_dwordx2 v[8:9], v[8:9], off offset:64
	s_waitcnt vmcnt(0)
	v_mul_f16_sdwa v10, v22, v8 dst_sel:DWORD dst_unused:UNUSED_PAD src0_sel:DWORD src1_sel:WORD_1
	v_mul_f16_sdwa v11, v23, v9 dst_sel:DWORD dst_unused:UNUSED_PAD src0_sel:DWORD src1_sel:WORD_1
	;; [unrolled: 1-line block ×4, first 2 shown]
	v_fma_f16 v6, v6, v8, v10
	v_fma_f16 v7, v7, v9, v11
	v_fma_f16 v8, v22, v8, -v12
	v_fma_f16 v9, v23, v9, -v13
	v_add_f16_e32 v11, v8, v9
	v_add_f16_e32 v12, v6, v7
	v_sub_f16_e32 v10, v6, v7
	v_sub_f16_e32 v13, v8, v9
	v_add_f16_e32 v8, v20, v8
	v_add_f16_e32 v6, v21, v6
	v_fma_f16 v11, v11, -0.5, v20
	v_fma_f16 v12, v12, -0.5, v21
	v_add_f16_e32 v8, v8, v9
	v_add_f16_e32 v6, v6, v7
	v_fma_f16 v7, v10, s5, v11
	v_fma_f16 v9, v13, s4, v12
	;; [unrolled: 1-line block ×4, first 2 shown]
	v_pack_b32_f16 v6, v6, v8
	v_pack_b32_f16 v7, v9, v7
	;; [unrolled: 1-line block ×3, first 2 shown]
	ds_write2_b32 v1, v6, v7 offset0:18 offset1:42
	ds_write_b32 v1, v8 offset:264
.LBB0_20:
	s_or_b64 exec, exec, s[2:3]
	s_waitcnt lgkmcnt(0)
	; wave barrier
	s_waitcnt lgkmcnt(0)
	ds_read_b32 v6, v14
	v_sub_u32_e32 v9, v15, v17
	v_cmp_ne_u32_e64 s[0:1], 0, v0
                                        ; implicit-def: $vgpr11
                                        ; implicit-def: $vgpr10
                                        ; implicit-def: $vgpr7_vgpr8
	s_and_saveexec_b64 s[2:3], s[0:1]
	s_xor_b64 s[2:3], exec, s[2:3]
	s_cbranch_execz .LBB0_22
; %bb.21:
	v_mov_b32_e32 v1, 0
	v_lshlrev_b64 v[7:8], 2, v[0:1]
	v_mov_b32_e32 v10, s9
	v_add_co_u32_e64 v7, s[0:1], s8, v7
	v_addc_co_u32_e64 v8, s[0:1], v10, v8, s[0:1]
	global_load_dword v7, v[7:8], off offset:256
	ds_read_b32 v8, v9 offset:288
	s_waitcnt lgkmcnt(0)
	v_add_f16_sdwa v11, v8, v6 dst_sel:DWORD dst_unused:UNUSED_PAD src0_sel:WORD_1 src1_sel:WORD_1
	v_sub_f16_e32 v12, v6, v8
	v_add_f16_e32 v10, v8, v6
	v_sub_f16_sdwa v6, v6, v8 dst_sel:DWORD dst_unused:UNUSED_PAD src0_sel:WORD_1 src1_sel:WORD_1
	v_mul_f16_e32 v8, 0.5, v11
	v_mul_f16_e32 v11, 0.5, v12
	;; [unrolled: 1-line block ×3, first 2 shown]
	s_waitcnt vmcnt(0)
	v_lshrrev_b32_e32 v12, 16, v7
	v_mul_f16_e32 v13, v12, v11
	v_fma_f16 v17, v8, v12, v6
	v_fma_f16 v6, v8, v12, -v6
	v_fma_f16 v12, v10, 0.5, v13
	v_fma_f16 v13, v10, 0.5, -v13
	v_fma_f16 v17, -v7, v11, v17
	v_fma_f16 v6, -v7, v11, v6
	v_fma_f16 v10, v7, v8, v12
	v_fma_f16 v11, -v7, v8, v13
	v_mov_b32_e32 v8, v1
	ds_write_b16 v14, v17 offset:2
	ds_write_b16 v9, v6 offset:290
	v_mov_b32_e32 v7, v0
                                        ; implicit-def: $vgpr6
.LBB0_22:
	s_andn2_saveexec_b64 s[0:1], s[2:3]
	s_cbranch_execz .LBB0_24
; %bb.23:
	v_mov_b32_e32 v1, 0
	ds_write_b16 v14, v1 offset:2
	ds_write_b16 v9, v1 offset:290
	ds_read_u16 v1, v15 offset:146
	v_mov_b32_e32 v7, 0
	s_waitcnt lgkmcnt(3)
	v_add_f16_sdwa v10, v6, v6 dst_sel:DWORD dst_unused:UNUSED_PAD src0_sel:WORD_1 src1_sel:DWORD
	v_sub_f16_sdwa v11, v6, v6 dst_sel:DWORD dst_unused:UNUSED_PAD src0_sel:DWORD src1_sel:WORD_1
	v_mov_b32_e32 v8, 0
	s_waitcnt lgkmcnt(0)
	v_xor_b32_e32 v1, 0x8000, v1
	ds_write_b16 v15, v1 offset:146
.LBB0_24:
	s_or_b64 exec, exec, s[0:1]
	s_waitcnt lgkmcnt(0)
	v_mov_b32_e32 v6, 0
	v_lshlrev_b64 v[12:13], 2, v[5:6]
	v_mov_b32_e32 v1, s9
	v_add_co_u32_e64 v12, s[0:1], s8, v12
	v_addc_co_u32_e64 v13, s[0:1], v1, v13, s[0:1]
	global_load_dword v1, v[12:13], off offset:256
	v_mov_b32_e32 v5, v6
	v_lshlrev_b64 v[5:6], 2, v[4:5]
	v_mov_b32_e32 v12, s9
	v_add_co_u32_e64 v5, s[0:1], s8, v5
	v_addc_co_u32_e64 v6, s[0:1], v12, v6, s[0:1]
	global_load_dword v12, v[5:6], off offset:256
	s_add_u32 s0, s8, 0x100
	v_lshlrev_b64 v[5:6], 2, v[7:8]
	s_addc_u32 s1, s9, 0
	v_mov_b32_e32 v8, s1
	v_add_co_u32_e64 v7, s[0:1], s0, v5
	v_addc_co_u32_e64 v8, s[0:1], v8, v6, s[0:1]
	global_load_dword v7, v[7:8], off offset:108
	ds_write_b16 v14, v10
	ds_write_b16 v9, v11 offset:288
	v_xor_b32_e32 v8, 63, v0
	v_lshl_add_u32 v8, v8, 2, v15
	ds_read_b32 v10, v16
	ds_read_b32 v11, v8
	s_mov_b32 s0, 0xffff
	v_lshl_add_u32 v4, v4, 2, v15
	s_waitcnt lgkmcnt(0)
	v_pk_add_f16 v13, v10, v11 neg_lo:[0,1] neg_hi:[0,1]
	v_pk_add_f16 v10, v10, v11
	v_bfi_b32 v11, s0, v13, v10
	v_bfi_b32 v10, s0, v10, v13
	v_pk_mul_f16 v11, v11, 0.5 op_sel_hi:[1,0]
	v_pk_mul_f16 v10, v10, 0.5 op_sel_hi:[1,0]
	s_waitcnt vmcnt(2)
	v_pk_fma_f16 v13, v1, v11, v10 op_sel:[1,0,0]
	v_pk_mul_f16 v15, v1, v11 op_sel_hi:[0,1]
	v_pk_fma_f16 v17, v1, v11, v10 op_sel:[1,0,0] neg_lo:[1,0,0] neg_hi:[1,0,0]
	v_pk_fma_f16 v1, v1, v11, v10 op_sel:[1,0,0] neg_lo:[0,0,1] neg_hi:[0,0,1]
	v_pk_add_f16 v10, v13, v15 op_sel:[0,1] op_sel_hi:[1,0]
	v_pk_add_f16 v11, v13, v15 op_sel:[0,1] op_sel_hi:[1,0] neg_lo:[0,1] neg_hi:[0,1]
	v_pk_add_f16 v13, v17, v15 op_sel:[0,1] op_sel_hi:[1,0] neg_lo:[0,1] neg_hi:[0,1]
	v_pk_add_f16 v1, v1, v15 op_sel:[0,1] op_sel_hi:[1,0] neg_lo:[0,1] neg_hi:[0,1]
	v_bfi_b32 v10, s0, v10, v11
	v_bfi_b32 v1, s0, v13, v1
	ds_write_b32 v16, v10
	ds_write_b32 v8, v1
	ds_read_b32 v1, v4
	ds_read_b32 v8, v9 offset:216
	s_waitcnt lgkmcnt(0)
	v_pk_add_f16 v10, v1, v8 neg_lo:[0,1] neg_hi:[0,1]
	v_pk_add_f16 v1, v1, v8
	v_bfi_b32 v8, s0, v10, v1
	v_bfi_b32 v1, s0, v1, v10
	v_pk_mul_f16 v8, v8, 0.5 op_sel_hi:[1,0]
	v_pk_mul_f16 v1, v1, 0.5 op_sel_hi:[1,0]
	s_waitcnt vmcnt(1)
	v_pk_fma_f16 v10, v12, v8, v1 op_sel:[1,0,0]
	v_pk_mul_f16 v11, v12, v8 op_sel_hi:[0,1]
	v_pk_fma_f16 v13, v12, v8, v1 op_sel:[1,0,0] neg_lo:[1,0,0] neg_hi:[1,0,0]
	v_pk_fma_f16 v1, v12, v8, v1 op_sel:[1,0,0] neg_lo:[0,0,1] neg_hi:[0,0,1]
	v_pk_add_f16 v8, v10, v11 op_sel:[0,1] op_sel_hi:[1,0]
	v_pk_add_f16 v10, v10, v11 op_sel:[0,1] op_sel_hi:[1,0] neg_lo:[0,1] neg_hi:[0,1]
	v_pk_add_f16 v12, v13, v11 op_sel:[0,1] op_sel_hi:[1,0] neg_lo:[0,1] neg_hi:[0,1]
	;; [unrolled: 1-line block ×3, first 2 shown]
	v_bfi_b32 v8, s0, v8, v10
	v_bfi_b32 v1, s0, v12, v1
	ds_write_b32 v4, v8
	ds_write_b32 v9, v1 offset:216
	ds_read_b32 v1, v14 offset:108
	ds_read_b32 v4, v9 offset:180
	s_waitcnt lgkmcnt(0)
	v_pk_add_f16 v8, v1, v4 neg_lo:[0,1] neg_hi:[0,1]
	v_pk_add_f16 v1, v1, v4
	v_bfi_b32 v4, s0, v8, v1
	v_bfi_b32 v1, s0, v1, v8
	v_pk_mul_f16 v4, v4, 0.5 op_sel_hi:[1,0]
	v_pk_mul_f16 v1, v1, 0.5 op_sel_hi:[1,0]
	s_waitcnt vmcnt(0)
	v_pk_fma_f16 v8, v7, v4, v1 op_sel:[1,0,0]
	v_pk_mul_f16 v10, v7, v4 op_sel_hi:[0,1]
	v_pk_fma_f16 v11, v7, v4, v1 op_sel:[1,0,0] neg_lo:[1,0,0] neg_hi:[1,0,0]
	v_pk_fma_f16 v1, v7, v4, v1 op_sel:[1,0,0] neg_lo:[0,0,1] neg_hi:[0,0,1]
	v_pk_add_f16 v4, v8, v10 op_sel:[0,1] op_sel_hi:[1,0]
	v_pk_add_f16 v7, v8, v10 op_sel:[0,1] op_sel_hi:[1,0] neg_lo:[0,1] neg_hi:[0,1]
	v_pk_add_f16 v8, v11, v10 op_sel:[0,1] op_sel_hi:[1,0] neg_lo:[0,1] neg_hi:[0,1]
	;; [unrolled: 1-line block ×3, first 2 shown]
	v_bfi_b32 v4, s0, v4, v7
	v_bfi_b32 v1, s0, v8, v1
	ds_write_b32 v14, v4 offset:108
	ds_write_b32 v9, v1 offset:180
	s_waitcnt lgkmcnt(0)
	; wave barrier
	s_waitcnt lgkmcnt(0)
	s_and_saveexec_b64 s[0:1], vcc
	s_cbranch_execz .LBB0_27
; %bb.25:
	v_mov_b32_e32 v4, s13
	v_add_co_u32_e32 v1, vcc, s12, v2
	v_addc_co_u32_e32 v2, vcc, v4, v3, vcc
	ds_read2_b32 v[3:4], v14 offset1:9
	ds_read2_b32 v[7:8], v14 offset0:18 offset1:27
	v_add_co_u32_e32 v5, vcc, v1, v5
	ds_read2_b32 v[9:10], v14 offset0:36 offset1:45
	v_addc_co_u32_e32 v6, vcc, v2, v6, vcc
	s_waitcnt lgkmcnt(2)
	global_store_dword v[5:6], v3, off
	global_store_dword v[5:6], v4, off offset:36
	ds_read2_b32 v[3:4], v14 offset0:54 offset1:63
	v_cmp_eq_u32_e32 vcc, 8, v0
	s_waitcnt lgkmcnt(2)
	global_store_dword v[5:6], v7, off offset:72
	global_store_dword v[5:6], v8, off offset:108
	s_waitcnt lgkmcnt(1)
	global_store_dword v[5:6], v9, off offset:144
	global_store_dword v[5:6], v10, off offset:180
	;; [unrolled: 3-line block ×3, first 2 shown]
	s_and_b64 exec, exec, vcc
	s_cbranch_execz .LBB0_27
; %bb.26:
	ds_read_b32 v0, v14 offset:256
	s_waitcnt lgkmcnt(0)
	global_store_dword v[1:2], v0, off offset:288
.LBB0_27:
	s_endpgm
	.section	.rodata,"a",@progbits
	.p2align	6, 0x0
	.amdhsa_kernel fft_rtc_back_len72_factors_8_3_3_wgs_63_tpt_9_halfLds_half_ip_CI_unitstride_sbrr_R2C_dirReg
		.amdhsa_group_segment_fixed_size 0
		.amdhsa_private_segment_fixed_size 0
		.amdhsa_kernarg_size 88
		.amdhsa_user_sgpr_count 6
		.amdhsa_user_sgpr_private_segment_buffer 1
		.amdhsa_user_sgpr_dispatch_ptr 0
		.amdhsa_user_sgpr_queue_ptr 0
		.amdhsa_user_sgpr_kernarg_segment_ptr 1
		.amdhsa_user_sgpr_dispatch_id 0
		.amdhsa_user_sgpr_flat_scratch_init 0
		.amdhsa_user_sgpr_private_segment_size 0
		.amdhsa_uses_dynamic_stack 0
		.amdhsa_system_sgpr_private_segment_wavefront_offset 0
		.amdhsa_system_sgpr_workgroup_id_x 1
		.amdhsa_system_sgpr_workgroup_id_y 0
		.amdhsa_system_sgpr_workgroup_id_z 0
		.amdhsa_system_sgpr_workgroup_info 0
		.amdhsa_system_vgpr_workitem_id 0
		.amdhsa_next_free_vgpr 38
		.amdhsa_next_free_sgpr 22
		.amdhsa_reserve_vcc 1
		.amdhsa_reserve_flat_scratch 0
		.amdhsa_float_round_mode_32 0
		.amdhsa_float_round_mode_16_64 0
		.amdhsa_float_denorm_mode_32 3
		.amdhsa_float_denorm_mode_16_64 3
		.amdhsa_dx10_clamp 1
		.amdhsa_ieee_mode 1
		.amdhsa_fp16_overflow 0
		.amdhsa_exception_fp_ieee_invalid_op 0
		.amdhsa_exception_fp_denorm_src 0
		.amdhsa_exception_fp_ieee_div_zero 0
		.amdhsa_exception_fp_ieee_overflow 0
		.amdhsa_exception_fp_ieee_underflow 0
		.amdhsa_exception_fp_ieee_inexact 0
		.amdhsa_exception_int_div_zero 0
	.end_amdhsa_kernel
	.text
.Lfunc_end0:
	.size	fft_rtc_back_len72_factors_8_3_3_wgs_63_tpt_9_halfLds_half_ip_CI_unitstride_sbrr_R2C_dirReg, .Lfunc_end0-fft_rtc_back_len72_factors_8_3_3_wgs_63_tpt_9_halfLds_half_ip_CI_unitstride_sbrr_R2C_dirReg
                                        ; -- End function
	.section	.AMDGPU.csdata,"",@progbits
; Kernel info:
; codeLenInByte = 4836
; NumSgprs: 26
; NumVgprs: 38
; ScratchSize: 0
; MemoryBound: 0
; FloatMode: 240
; IeeeMode: 1
; LDSByteSize: 0 bytes/workgroup (compile time only)
; SGPRBlocks: 3
; VGPRBlocks: 9
; NumSGPRsForWavesPerEU: 26
; NumVGPRsForWavesPerEU: 38
; Occupancy: 6
; WaveLimiterHint : 1
; COMPUTE_PGM_RSRC2:SCRATCH_EN: 0
; COMPUTE_PGM_RSRC2:USER_SGPR: 6
; COMPUTE_PGM_RSRC2:TRAP_HANDLER: 0
; COMPUTE_PGM_RSRC2:TGID_X_EN: 1
; COMPUTE_PGM_RSRC2:TGID_Y_EN: 0
; COMPUTE_PGM_RSRC2:TGID_Z_EN: 0
; COMPUTE_PGM_RSRC2:TIDIG_COMP_CNT: 0
	.type	__hip_cuid_92c3571909fb47d9,@object ; @__hip_cuid_92c3571909fb47d9
	.section	.bss,"aw",@nobits
	.globl	__hip_cuid_92c3571909fb47d9
__hip_cuid_92c3571909fb47d9:
	.byte	0                               ; 0x0
	.size	__hip_cuid_92c3571909fb47d9, 1

	.ident	"AMD clang version 19.0.0git (https://github.com/RadeonOpenCompute/llvm-project roc-6.4.0 25133 c7fe45cf4b819c5991fe208aaa96edf142730f1d)"
	.section	".note.GNU-stack","",@progbits
	.addrsig
	.addrsig_sym __hip_cuid_92c3571909fb47d9
	.amdgpu_metadata
---
amdhsa.kernels:
  - .args:
      - .actual_access:  read_only
        .address_space:  global
        .offset:         0
        .size:           8
        .value_kind:     global_buffer
      - .offset:         8
        .size:           8
        .value_kind:     by_value
      - .actual_access:  read_only
        .address_space:  global
        .offset:         16
        .size:           8
        .value_kind:     global_buffer
      - .actual_access:  read_only
        .address_space:  global
        .offset:         24
        .size:           8
        .value_kind:     global_buffer
      - .offset:         32
        .size:           8
        .value_kind:     by_value
      - .actual_access:  read_only
        .address_space:  global
        .offset:         40
        .size:           8
        .value_kind:     global_buffer
      - .actual_access:  read_only
        .address_space:  global
        .offset:         48
        .size:           8
        .value_kind:     global_buffer
      - .offset:         56
        .size:           4
        .value_kind:     by_value
      - .actual_access:  read_only
        .address_space:  global
        .offset:         64
        .size:           8
        .value_kind:     global_buffer
      - .actual_access:  read_only
        .address_space:  global
        .offset:         72
        .size:           8
        .value_kind:     global_buffer
      - .address_space:  global
        .offset:         80
        .size:           8
        .value_kind:     global_buffer
    .group_segment_fixed_size: 0
    .kernarg_segment_align: 8
    .kernarg_segment_size: 88
    .language:       OpenCL C
    .language_version:
      - 2
      - 0
    .max_flat_workgroup_size: 63
    .name:           fft_rtc_back_len72_factors_8_3_3_wgs_63_tpt_9_halfLds_half_ip_CI_unitstride_sbrr_R2C_dirReg
    .private_segment_fixed_size: 0
    .sgpr_count:     26
    .sgpr_spill_count: 0
    .symbol:         fft_rtc_back_len72_factors_8_3_3_wgs_63_tpt_9_halfLds_half_ip_CI_unitstride_sbrr_R2C_dirReg.kd
    .uniform_work_group_size: 1
    .uses_dynamic_stack: false
    .vgpr_count:     38
    .vgpr_spill_count: 0
    .wavefront_size: 64
amdhsa.target:   amdgcn-amd-amdhsa--gfx906
amdhsa.version:
  - 1
  - 2
...

	.end_amdgpu_metadata
